;; amdgpu-corpus repo=ROCm/rocFFT kind=compiled arch=gfx1201 opt=O3
	.text
	.amdgcn_target "amdgcn-amd-amdhsa--gfx1201"
	.amdhsa_code_object_version 6
	.protected	fft_rtc_fwd_len847_factors_11_7_11_wgs_231_tpt_77_halfLds_dp_op_CI_CI_unitstride_sbrr_dirReg ; -- Begin function fft_rtc_fwd_len847_factors_11_7_11_wgs_231_tpt_77_halfLds_dp_op_CI_CI_unitstride_sbrr_dirReg
	.globl	fft_rtc_fwd_len847_factors_11_7_11_wgs_231_tpt_77_halfLds_dp_op_CI_CI_unitstride_sbrr_dirReg
	.p2align	8
	.type	fft_rtc_fwd_len847_factors_11_7_11_wgs_231_tpt_77_halfLds_dp_op_CI_CI_unitstride_sbrr_dirReg,@function
fft_rtc_fwd_len847_factors_11_7_11_wgs_231_tpt_77_halfLds_dp_op_CI_CI_unitstride_sbrr_dirReg: ; @fft_rtc_fwd_len847_factors_11_7_11_wgs_231_tpt_77_halfLds_dp_op_CI_CI_unitstride_sbrr_dirReg
; %bb.0:
	s_load_b128 s[8:11], s[0:1], 0x0
	v_mul_u32_u24_e32 v1, 0x354, v0
	s_clause 0x1
	s_load_b128 s[4:7], s[0:1], 0x58
	s_load_b128 s[12:15], s[0:1], 0x18
	v_mov_b32_e32 v4, 0
	v_lshrrev_b32_e32 v2, 16, v1
	v_mov_b32_e32 v1, 0
	s_delay_alu instid0(VALU_DEP_2) | instskip(NEXT) | instid1(VALU_DEP_2)
	v_mad_co_u64_u32 v[44:45], null, ttmp9, 3, v[2:3]
	v_mov_b32_e32 v45, v1
	v_mov_b32_e32 v5, 0
	s_delay_alu instid0(VALU_DEP_2) | instskip(SKIP_2) | instid1(VALU_DEP_3)
	v_dual_mov_b32 v79, v45 :: v_dual_mov_b32 v78, v44
	s_wait_kmcnt 0x0
	v_cmp_lt_u64_e64 s2, s[10:11], 2
	v_dual_mov_b32 v77, v5 :: v_dual_mov_b32 v76, v4
	s_delay_alu instid0(VALU_DEP_2)
	s_and_b32 vcc_lo, exec_lo, s2
	s_cbranch_vccnz .LBB0_8
; %bb.1:
	s_load_b64 s[2:3], s[0:1], 0x10
	v_mov_b32_e32 v4, 0
	v_dual_mov_b32 v5, 0 :: v_dual_mov_b32 v6, v44
	v_mov_b32_e32 v7, v45
	s_add_nc_u64 s[16:17], s[14:15], 8
	s_add_nc_u64 s[18:19], s[12:13], 8
	s_delay_alu instid0(VALU_DEP_2)
	v_dual_mov_b32 v77, v5 :: v_dual_mov_b32 v76, v4
	s_mov_b64 s[20:21], 1
	s_wait_kmcnt 0x0
	s_add_nc_u64 s[22:23], s[2:3], 8
	s_mov_b32 s3, 0
.LBB0_2:                                ; =>This Inner Loop Header: Depth=1
	s_load_b64 s[24:25], s[22:23], 0x0
                                        ; implicit-def: $vgpr78_vgpr79
	s_mov_b32 s2, exec_lo
	s_wait_kmcnt 0x0
	v_or_b32_e32 v2, s25, v7
	s_delay_alu instid0(VALU_DEP_1)
	v_cmpx_ne_u64_e32 0, v[1:2]
	s_wait_alu 0xfffe
	s_xor_b32 s26, exec_lo, s2
	s_cbranch_execz .LBB0_4
; %bb.3:                                ;   in Loop: Header=BB0_2 Depth=1
	s_cvt_f32_u32 s2, s24
	s_cvt_f32_u32 s27, s25
	s_sub_nc_u64 s[30:31], 0, s[24:25]
	s_wait_alu 0xfffe
	s_delay_alu instid0(SALU_CYCLE_1) | instskip(SKIP_1) | instid1(SALU_CYCLE_2)
	s_fmamk_f32 s2, s27, 0x4f800000, s2
	s_wait_alu 0xfffe
	v_s_rcp_f32 s2, s2
	s_delay_alu instid0(TRANS32_DEP_1) | instskip(SKIP_1) | instid1(SALU_CYCLE_2)
	s_mul_f32 s2, s2, 0x5f7ffffc
	s_wait_alu 0xfffe
	s_mul_f32 s27, s2, 0x2f800000
	s_wait_alu 0xfffe
	s_delay_alu instid0(SALU_CYCLE_2) | instskip(SKIP_1) | instid1(SALU_CYCLE_2)
	s_trunc_f32 s27, s27
	s_wait_alu 0xfffe
	s_fmamk_f32 s2, s27, 0xcf800000, s2
	s_cvt_u32_f32 s29, s27
	s_wait_alu 0xfffe
	s_delay_alu instid0(SALU_CYCLE_1) | instskip(SKIP_1) | instid1(SALU_CYCLE_2)
	s_cvt_u32_f32 s28, s2
	s_wait_alu 0xfffe
	s_mul_u64 s[34:35], s[30:31], s[28:29]
	s_wait_alu 0xfffe
	s_mul_hi_u32 s37, s28, s35
	s_mul_i32 s36, s28, s35
	s_mul_hi_u32 s2, s28, s34
	s_mul_i32 s33, s29, s34
	s_wait_alu 0xfffe
	s_add_nc_u64 s[36:37], s[2:3], s[36:37]
	s_mul_hi_u32 s27, s29, s34
	s_mul_hi_u32 s38, s29, s35
	s_add_co_u32 s2, s36, s33
	s_wait_alu 0xfffe
	s_add_co_ci_u32 s2, s37, s27
	s_mul_i32 s34, s29, s35
	s_add_co_ci_u32 s35, s38, 0
	s_wait_alu 0xfffe
	s_add_nc_u64 s[34:35], s[2:3], s[34:35]
	s_wait_alu 0xfffe
	v_add_co_u32 v2, s2, s28, s34
	s_delay_alu instid0(VALU_DEP_1) | instskip(SKIP_1) | instid1(VALU_DEP_1)
	s_cmp_lg_u32 s2, 0
	s_add_co_ci_u32 s29, s29, s35
	v_readfirstlane_b32 s28, v2
	s_wait_alu 0xfffe
	s_delay_alu instid0(VALU_DEP_1)
	s_mul_u64 s[30:31], s[30:31], s[28:29]
	s_wait_alu 0xfffe
	s_mul_hi_u32 s35, s28, s31
	s_mul_i32 s34, s28, s31
	s_mul_hi_u32 s2, s28, s30
	s_mul_i32 s33, s29, s30
	s_wait_alu 0xfffe
	s_add_nc_u64 s[34:35], s[2:3], s[34:35]
	s_mul_hi_u32 s27, s29, s30
	s_mul_hi_u32 s28, s29, s31
	s_wait_alu 0xfffe
	s_add_co_u32 s2, s34, s33
	s_add_co_ci_u32 s2, s35, s27
	s_mul_i32 s30, s29, s31
	s_add_co_ci_u32 s31, s28, 0
	s_wait_alu 0xfffe
	s_add_nc_u64 s[30:31], s[2:3], s[30:31]
	s_wait_alu 0xfffe
	v_add_co_u32 v8, s2, v2, s30
	s_delay_alu instid0(VALU_DEP_1) | instskip(SKIP_1) | instid1(VALU_DEP_1)
	s_cmp_lg_u32 s2, 0
	s_add_co_ci_u32 s2, s29, s31
	v_mul_hi_u32 v12, v6, v8
	s_wait_alu 0xfffe
	v_mad_co_u64_u32 v[2:3], null, v6, s2, 0
	v_mad_co_u64_u32 v[8:9], null, v7, v8, 0
	;; [unrolled: 1-line block ×3, first 2 shown]
	s_delay_alu instid0(VALU_DEP_3) | instskip(SKIP_1) | instid1(VALU_DEP_4)
	v_add_co_u32 v2, vcc_lo, v12, v2
	s_wait_alu 0xfffd
	v_add_co_ci_u32_e32 v3, vcc_lo, 0, v3, vcc_lo
	s_delay_alu instid0(VALU_DEP_2) | instskip(SKIP_1) | instid1(VALU_DEP_2)
	v_add_co_u32 v2, vcc_lo, v2, v8
	s_wait_alu 0xfffd
	v_add_co_ci_u32_e32 v2, vcc_lo, v3, v9, vcc_lo
	s_wait_alu 0xfffd
	v_add_co_ci_u32_e32 v3, vcc_lo, 0, v11, vcc_lo
	s_delay_alu instid0(VALU_DEP_2) | instskip(SKIP_1) | instid1(VALU_DEP_2)
	v_add_co_u32 v8, vcc_lo, v2, v10
	s_wait_alu 0xfffd
	v_add_co_ci_u32_e32 v9, vcc_lo, 0, v3, vcc_lo
	s_delay_alu instid0(VALU_DEP_2) | instskip(SKIP_1) | instid1(VALU_DEP_3)
	v_mul_lo_u32 v10, s25, v8
	v_mad_co_u64_u32 v[2:3], null, s24, v8, 0
	v_mul_lo_u32 v11, s24, v9
	s_delay_alu instid0(VALU_DEP_2) | instskip(NEXT) | instid1(VALU_DEP_2)
	v_sub_co_u32 v2, vcc_lo, v6, v2
	v_add3_u32 v3, v3, v11, v10
	s_delay_alu instid0(VALU_DEP_1) | instskip(SKIP_1) | instid1(VALU_DEP_1)
	v_sub_nc_u32_e32 v10, v7, v3
	s_wait_alu 0xfffd
	v_subrev_co_ci_u32_e64 v10, s2, s25, v10, vcc_lo
	v_add_co_u32 v11, s2, v8, 2
	s_wait_alu 0xf1ff
	v_add_co_ci_u32_e64 v12, s2, 0, v9, s2
	v_sub_co_u32 v13, s2, v2, s24
	v_sub_co_ci_u32_e32 v3, vcc_lo, v7, v3, vcc_lo
	s_wait_alu 0xf1ff
	v_subrev_co_ci_u32_e64 v10, s2, 0, v10, s2
	s_delay_alu instid0(VALU_DEP_3) | instskip(NEXT) | instid1(VALU_DEP_3)
	v_cmp_le_u32_e32 vcc_lo, s24, v13
	v_cmp_eq_u32_e64 s2, s25, v3
	s_wait_alu 0xfffd
	v_cndmask_b32_e64 v13, 0, -1, vcc_lo
	v_cmp_le_u32_e32 vcc_lo, s25, v10
	s_wait_alu 0xfffd
	v_cndmask_b32_e64 v14, 0, -1, vcc_lo
	v_cmp_le_u32_e32 vcc_lo, s24, v2
	;; [unrolled: 3-line block ×3, first 2 shown]
	s_wait_alu 0xfffd
	v_cndmask_b32_e64 v15, 0, -1, vcc_lo
	v_cmp_eq_u32_e32 vcc_lo, s25, v10
	s_wait_alu 0xf1ff
	s_delay_alu instid0(VALU_DEP_2)
	v_cndmask_b32_e64 v2, v15, v2, s2
	s_wait_alu 0xfffd
	v_cndmask_b32_e32 v10, v14, v13, vcc_lo
	v_add_co_u32 v13, vcc_lo, v8, 1
	s_wait_alu 0xfffd
	v_add_co_ci_u32_e32 v14, vcc_lo, 0, v9, vcc_lo
	s_delay_alu instid0(VALU_DEP_3) | instskip(SKIP_1) | instid1(VALU_DEP_2)
	v_cmp_ne_u32_e32 vcc_lo, 0, v10
	s_wait_alu 0xfffd
	v_dual_cndmask_b32 v3, v14, v12 :: v_dual_cndmask_b32 v10, v13, v11
	v_cmp_ne_u32_e32 vcc_lo, 0, v2
	s_wait_alu 0xfffd
	s_delay_alu instid0(VALU_DEP_2)
	v_dual_cndmask_b32 v79, v9, v3 :: v_dual_cndmask_b32 v78, v8, v10
.LBB0_4:                                ;   in Loop: Header=BB0_2 Depth=1
	s_wait_alu 0xfffe
	s_and_not1_saveexec_b32 s2, s26
	s_cbranch_execz .LBB0_6
; %bb.5:                                ;   in Loop: Header=BB0_2 Depth=1
	v_cvt_f32_u32_e32 v2, s24
	s_sub_co_i32 s26, 0, s24
	v_mov_b32_e32 v79, v1
	s_delay_alu instid0(VALU_DEP_2) | instskip(NEXT) | instid1(TRANS32_DEP_1)
	v_rcp_iflag_f32_e32 v2, v2
	v_mul_f32_e32 v2, 0x4f7ffffe, v2
	s_delay_alu instid0(VALU_DEP_1) | instskip(SKIP_1) | instid1(VALU_DEP_1)
	v_cvt_u32_f32_e32 v2, v2
	s_wait_alu 0xfffe
	v_mul_lo_u32 v3, s26, v2
	s_delay_alu instid0(VALU_DEP_1) | instskip(NEXT) | instid1(VALU_DEP_1)
	v_mul_hi_u32 v3, v2, v3
	v_add_nc_u32_e32 v2, v2, v3
	s_delay_alu instid0(VALU_DEP_1) | instskip(NEXT) | instid1(VALU_DEP_1)
	v_mul_hi_u32 v2, v6, v2
	v_mul_lo_u32 v3, v2, s24
	v_add_nc_u32_e32 v8, 1, v2
	s_delay_alu instid0(VALU_DEP_2) | instskip(NEXT) | instid1(VALU_DEP_1)
	v_sub_nc_u32_e32 v3, v6, v3
	v_subrev_nc_u32_e32 v9, s24, v3
	v_cmp_le_u32_e32 vcc_lo, s24, v3
	s_wait_alu 0xfffd
	s_delay_alu instid0(VALU_DEP_2) | instskip(NEXT) | instid1(VALU_DEP_1)
	v_dual_cndmask_b32 v3, v3, v9 :: v_dual_cndmask_b32 v2, v2, v8
	v_cmp_le_u32_e32 vcc_lo, s24, v3
	s_delay_alu instid0(VALU_DEP_2) | instskip(SKIP_1) | instid1(VALU_DEP_1)
	v_add_nc_u32_e32 v8, 1, v2
	s_wait_alu 0xfffd
	v_cndmask_b32_e32 v78, v2, v8, vcc_lo
.LBB0_6:                                ;   in Loop: Header=BB0_2 Depth=1
	s_wait_alu 0xfffe
	s_or_b32 exec_lo, exec_lo, s2
	v_mul_lo_u32 v8, v79, s24
	s_delay_alu instid0(VALU_DEP_2)
	v_mul_lo_u32 v9, v78, s25
	s_load_b64 s[26:27], s[18:19], 0x0
	v_mad_co_u64_u32 v[2:3], null, v78, s24, 0
	s_load_b64 s[24:25], s[16:17], 0x0
	s_add_nc_u64 s[20:21], s[20:21], 1
	s_add_nc_u64 s[16:17], s[16:17], 8
	s_wait_alu 0xfffe
	v_cmp_ge_u64_e64 s2, s[20:21], s[10:11]
	s_add_nc_u64 s[18:19], s[18:19], 8
	s_add_nc_u64 s[22:23], s[22:23], 8
	v_add3_u32 v3, v3, v9, v8
	v_sub_co_u32 v2, vcc_lo, v6, v2
	s_wait_alu 0xfffd
	s_delay_alu instid0(VALU_DEP_2) | instskip(SKIP_2) | instid1(VALU_DEP_1)
	v_sub_co_ci_u32_e32 v3, vcc_lo, v7, v3, vcc_lo
	s_and_b32 vcc_lo, exec_lo, s2
	s_wait_kmcnt 0x0
	v_mul_lo_u32 v6, s26, v3
	v_mul_lo_u32 v7, s27, v2
	v_mad_co_u64_u32 v[4:5], null, s26, v2, v[4:5]
	v_mul_lo_u32 v3, s24, v3
	v_mul_lo_u32 v8, s25, v2
	v_mad_co_u64_u32 v[76:77], null, s24, v2, v[76:77]
	s_delay_alu instid0(VALU_DEP_4) | instskip(NEXT) | instid1(VALU_DEP_2)
	v_add3_u32 v5, v7, v5, v6
	v_add3_u32 v77, v8, v77, v3
	s_wait_alu 0xfffe
	s_cbranch_vccnz .LBB0_8
; %bb.7:                                ;   in Loop: Header=BB0_2 Depth=1
	v_dual_mov_b32 v6, v78 :: v_dual_mov_b32 v7, v79
	s_branch .LBB0_2
.LBB0_8:
	s_load_b64 s[0:1], s[0:1], 0x28
	v_mul_hi_u32 v1, 0x3531ded, v0
	s_lshl_b64 s[10:11], s[10:11], 3
                                        ; implicit-def: $sgpr2_sgpr3
                                        ; implicit-def: $vgpr64
	s_wait_kmcnt 0x0
	v_cmp_gt_u64_e32 vcc_lo, s[0:1], v[78:79]
	v_cmp_le_u64_e64 s0, s[0:1], v[78:79]
	s_delay_alu instid0(VALU_DEP_1)
	s_and_saveexec_b32 s1, s0
	s_wait_alu 0xfffe
	s_xor_b32 s0, exec_lo, s1
; %bb.9:
	v_mul_u32_u24_e32 v1, 0x4d, v1
	s_mov_b64 s[2:3], 0
                                        ; implicit-def: $vgpr4_vgpr5
	s_delay_alu instid0(VALU_DEP_1)
	v_sub_nc_u32_e32 v64, v0, v1
                                        ; implicit-def: $vgpr1
                                        ; implicit-def: $vgpr0
; %bb.10:
	s_wait_alu 0xfffe
	s_or_saveexec_b32 s1, s0
	v_dual_mov_b32 v81, s3 :: v_dual_mov_b32 v80, s2
	s_add_nc_u64 s[2:3], s[14:15], s[10:11]
                                        ; implicit-def: $vgpr2_vgpr3
                                        ; implicit-def: $vgpr6_vgpr7
                                        ; implicit-def: $vgpr10_vgpr11
                                        ; implicit-def: $vgpr26_vgpr27
                                        ; implicit-def: $vgpr22_vgpr23
                                        ; implicit-def: $vgpr14_vgpr15
                                        ; implicit-def: $vgpr30_vgpr31
                                        ; implicit-def: $vgpr34_vgpr35
                                        ; implicit-def: $vgpr38_vgpr39
                                        ; implicit-def: $vgpr42_vgpr43
                                        ; implicit-def: $vgpr18_vgpr19
	s_wait_alu 0xfffe
	s_xor_b32 exec_lo, exec_lo, s1
	s_cbranch_execz .LBB0_12
; %bb.11:
	s_add_nc_u64 s[10:11], s[12:13], s[10:11]
	v_mov_b32_e32 v65, 0
	s_load_b64 s[10:11], s[10:11], 0x0
	s_wait_kmcnt 0x0
	v_mul_lo_u32 v6, s11, v78
	v_mul_lo_u32 v7, s10, v79
	v_mad_co_u64_u32 v[2:3], null, s10, v78, 0
	s_delay_alu instid0(VALU_DEP_1) | instskip(SKIP_1) | instid1(VALU_DEP_2)
	v_add3_u32 v3, v3, v7, v6
	v_mul_u32_u24_e32 v6, 0x4d, v1
	v_lshlrev_b64_e32 v[1:2], 4, v[2:3]
	v_lshlrev_b64_e32 v[3:4], 4, v[4:5]
	s_delay_alu instid0(VALU_DEP_3) | instskip(SKIP_1) | instid1(VALU_DEP_4)
	v_sub_nc_u32_e32 v64, v0, v6
	v_mov_b32_e32 v81, v65
	v_add_co_u32 v0, s0, s4, v1
	s_delay_alu instid0(VALU_DEP_3)
	v_mov_b32_e32 v80, v64
	s_wait_alu 0xf1ff
	v_add_co_ci_u32_e64 v1, s0, s5, v2, s0
	v_lshlrev_b32_e32 v2, 4, v64
	v_add_co_u32 v0, s0, v0, v3
	s_wait_alu 0xf1ff
	s_delay_alu instid0(VALU_DEP_3) | instskip(NEXT) | instid1(VALU_DEP_2)
	v_add_co_ci_u32_e64 v1, s0, v1, v4, s0
	v_add_co_u32 v0, s0, v0, v2
	s_wait_alu 0xf1ff
	s_delay_alu instid0(VALU_DEP_2)
	v_add_co_ci_u32_e64 v1, s0, 0, v1, s0
	s_clause 0xa
	global_load_b128 v[16:19], v[0:1], off
	global_load_b128 v[40:43], v[0:1], off offset:1232
	global_load_b128 v[36:39], v[0:1], off offset:2464
	;; [unrolled: 1-line block ×10, first 2 shown]
.LBB0_12:
	s_or_b32 exec_lo, exec_lo, s1
	s_wait_loadcnt 0x9
	v_add_f64_e32 v[45:46], v[40:41], v[16:17]
	s_wait_loadcnt 0x0
	v_add_f64_e32 v[47:48], v[0:1], v[40:41]
	s_mov_b32 s12, 0x8764f0ba
	s_mov_b32 s4, 0xd9c712b6
	s_mov_b32 s14, 0x7f775887
	s_mov_b32 s16, 0x9bcd5057
	s_mov_b32 s13, 0x3feaeb8c
	s_mov_b32 s5, 0x3fda9628
	s_mov_b32 s15, 0xbfe4f49e
	s_mov_b32 s17, 0xbfeeb42a
	s_mov_b32 s10, 0x640f44db
	v_add_f64_e32 v[49:50], v[4:5], v[36:37]
	v_add_f64_e64 v[51:52], v[42:43], -v[2:3]
	s_mov_b32 s11, 0xbfc2375f
	s_mov_b32 s24, 0xf8bb580b
	;; [unrolled: 1-line block ×12, first 2 shown]
	s_wait_alu 0xfffe
	s_mov_b32 s28, s24
	s_mov_b32 s36, s20
	;; [unrolled: 1-line block ×6, first 2 shown]
	v_add_f64_e64 v[61:62], v[38:39], -v[6:7]
	v_add_f64_e32 v[65:66], v[8:9], v[32:33]
	s_mov_b32 s31, 0x3fefac9e
	s_mov_b32 s19, 0xbfefac9e
	s_wait_alu 0xfffe
	s_mov_b32 s18, s30
	v_add_f64_e32 v[92:93], v[24:25], v[28:29]
	s_load_b64 s[2:3], s[2:3], 0x0
	v_add_f64_e32 v[45:46], v[36:37], v[45:46]
	v_mul_f64_e32 v[53:54], s[12:13], v[47:48]
	v_mul_f64_e32 v[55:56], s[4:5], v[47:48]
	;; [unrolled: 1-line block ×16, first 2 shown]
	v_add_f64_e32 v[45:46], v[32:33], v[45:46]
	v_fma_f64 v[82:83], v[51:52], s[24:25], v[53:54]
	v_fma_f64 v[53:54], v[51:52], s[28:29], v[53:54]
	;; [unrolled: 1-line block ×10, first 2 shown]
	v_add_f64_e64 v[51:52], v[34:35], -v[10:11]
	v_fma_f64 v[102:103], v[61:62], s[20:21], v[67:68]
	v_fma_f64 v[67:68], v[61:62], s[36:37], v[67:68]
	;; [unrolled: 1-line block ×10, first 2 shown]
	v_mul_f64_e32 v[114:115], s[10:11], v[92:93]
	v_mul_f64_e32 v[116:117], s[12:13], v[92:93]
	;; [unrolled: 1-line block ×4, first 2 shown]
	v_add_f64_e32 v[45:46], v[28:29], v[45:46]
	v_add_f64_e32 v[61:62], v[16:17], v[82:83]
	;; [unrolled: 1-line block ×11, first 2 shown]
	v_add_f64_e64 v[47:48], v[30:31], -v[26:27]
	v_add_f64_e32 v[90:91], v[20:21], v[12:13]
	v_fma_f64 v[120:121], v[51:52], s[30:31], v[94:95]
	v_fma_f64 v[94:95], v[51:52], s[18:19], v[94:95]
	;; [unrolled: 1-line block ×10, first 2 shown]
	v_add_f64_e32 v[45:46], v[12:13], v[45:46]
	v_add_f64_e32 v[61:62], v[102:103], v[61:62]
	v_add_f64_e32 v[53:54], v[67:68], v[53:54]
	v_add_f64_e32 v[65:66], v[69:70], v[82:83]
	v_add_f64_e32 v[67:68], v[108:109], v[84:85]
	v_add_f64_e32 v[57:58], v[73:74], v[57:58]
	v_add_f64_e32 v[69:70], v[110:111], v[86:87]
	v_add_f64_e32 v[49:50], v[49:50], v[59:60]
	v_add_f64_e32 v[59:60], v[71:72], v[88:89]
	v_add_f64_e32 v[55:56], v[104:105], v[55:56]
	v_add_f64_e32 v[16:17], v[106:107], v[16:17]
	v_add_f64_e64 v[71:72], v[14:15], -v[22:23]
	v_mul_f64_e32 v[73:74], s[16:17], v[90:91]
	v_mul_f64_e32 v[82:83], s[12:13], v[90:91]
	;; [unrolled: 1-line block ×5, first 2 shown]
	v_fma_f64 v[90:91], v[47:48], s[0:1], v[112:113]
	v_fma_f64 v[102:103], v[47:48], s[22:23], v[112:113]
	;; [unrolled: 1-line block ×10, first 2 shown]
	v_add_f64_e32 v[45:46], v[20:21], v[45:46]
	v_add_f64_e32 v[61:62], v[120:121], v[61:62]
	;; [unrolled: 1-line block ×11, first 2 shown]
	v_fma_f64 v[59:60], v[71:72], s[34:35], v[73:74]
	v_fma_f64 v[73:74], v[71:72], s[26:27], v[73:74]
	;; [unrolled: 1-line block ×10, first 2 shown]
	v_cmp_gt_u32_e64 s0, 44, v64
	v_add_f64_e32 v[45:46], v[24:25], v[45:46]
	v_add_f64_e32 v[61:62], v[90:91], v[61:62]
	;; [unrolled: 1-line block ×20, first 2 shown]
                                        ; implicit-def: $vgpr71_vgpr72
	v_add_f64_e32 v[90:91], v[4:5], v[45:46]
	v_mul_hi_u32 v45, 0xaaaaaaab, v44
	v_add_f64_e32 v[46:47], v[73:74], v[53:54]
	v_add_f64_e32 v[52:53], v[96:97], v[88:89]
	s_delay_alu instid0(VALU_DEP_3) | instskip(NEXT) | instid1(VALU_DEP_1)
	v_lshrrev_b32_e32 v45, 1, v45
	v_lshl_add_u32 v16, v45, 1, v45
	s_delay_alu instid0(VALU_DEP_1) | instskip(NEXT) | instid1(VALU_DEP_1)
	v_sub_nc_u32_e32 v16, v44, v16
	v_mul_u32_u24_e32 v75, 0x34f, v16
	s_delay_alu instid0(VALU_DEP_1) | instskip(NEXT) | instid1(VALU_DEP_1)
	v_lshl_add_u32 v17, v75, 3, 0
	v_mad_u32_u24 v16, 0x58, v64, v17
	v_lshl_add_u32 v100, v64, 3, v17
	v_add_f64_e32 v[54:55], v[0:1], v[90:91]
	s_delay_alu instid0(VALU_DEP_3)
	v_mad_i32_i24 v82, 0xffffffb0, v64, v16
	ds_store_2addr_b64 v16, v[52:53], v[57:58] offset0:4 offset1:5
	ds_store_2addr_b64 v16, v[48:49], v[65:66] offset0:6 offset1:7
	;; [unrolled: 1-line block ×3, first 2 shown]
	ds_store_b64 v16, v[46:47] offset:80
	ds_store_2addr_b64 v16, v[54:55], v[59:60] offset1:1
	ds_store_2addr_b64 v16, v[50:51], v[61:62] offset0:2 offset1:3
	v_add_nc_u32_e32 v17, 0x800, v82
	v_add_nc_u32_e32 v83, 0x1000, v82
	global_wb scope:SCOPE_SE
	s_wait_dscnt 0x0
	s_wait_kmcnt 0x0
	s_barrier_signal -1
	s_barrier_wait -1
	global_inv scope:SCOPE_SE
	ds_load_b64 v[73:74], v100
	ds_load_2addr_b64 v[56:59], v82 offset0:121 offset1:242
	ds_load_2addr_b64 v[52:55], v17 offset0:107 offset1:228
	;; [unrolled: 1-line block ×3, first 2 shown]
                                        ; implicit-def: $vgpr50_vgpr51
	s_and_saveexec_b32 s1, s0
	s_cbranch_execz .LBB0_14
; %bb.13:
	ds_load_2addr_b64 v[44:47], v17 offset0:63 offset1:184
	ds_load_2addr_b64 v[84:87], v82 offset0:77 offset1:198
	;; [unrolled: 1-line block ×3, first 2 shown]
	ds_load_b64 v[71:72], v82 offset:6424
	s_wait_dscnt 0x3
	v_dual_mov_b32 v68, v45 :: v_dual_mov_b32 v67, v44
	s_wait_dscnt 0x2
	v_dual_mov_b32 v69, v86 :: v_dual_mov_b32 v70, v87
	v_dual_mov_b32 v65, v84 :: v_dual_mov_b32 v66, v85
.LBB0_14:
	s_wait_alu 0xfffe
	s_or_b32 exec_lo, exec_lo, s1
	v_add_f64_e32 v[44:45], v[42:43], v[18:19]
	v_add_f64_e64 v[0:1], v[40:41], -v[0:1]
	v_add_f64_e64 v[4:5], v[36:37], -v[4:5]
	v_add_f64_e32 v[36:37], v[2:3], v[42:43]
	v_add_f64_e64 v[8:9], v[32:33], -v[8:9]
	v_add_f64_e32 v[32:33], v[6:7], v[38:39]
	v_add_f64_e64 v[24:25], v[28:29], -v[24:25]
	v_add_f64_e64 v[12:13], v[12:13], -v[20:21]
	global_wb scope:SCOPE_SE
	s_wait_dscnt 0x0
	s_barrier_signal -1
	s_barrier_wait -1
	global_inv scope:SCOPE_SE
	v_add_f64_e32 v[44:45], v[38:39], v[44:45]
	v_mul_f64_e32 v[42:43], s[28:29], v[0:1]
	v_mul_f64_e32 v[84:85], s[22:23], v[0:1]
	;; [unrolled: 1-line block ×13, first 2 shown]
	v_add_f64_e32 v[40:41], v[34:35], v[44:45]
	v_mul_f64_e32 v[44:45], s[36:37], v[0:1]
	v_mul_f64_e32 v[0:1], s[18:19], v[0:1]
	v_fma_f64 v[94:95], v[36:37], s[12:13], v[42:43]
	v_fma_f64 v[42:43], v[36:37], s[12:13], -v[42:43]
	v_fma_f64 v[98:99], v[36:37], s[14:15], v[84:85]
	v_fma_f64 v[101:102], v[36:37], s[16:17], v[86:87]
	v_fma_f64 v[84:85], v[36:37], s[14:15], -v[84:85]
	v_fma_f64 v[86:87], v[36:37], s[16:17], -v[86:87]
	v_add_f64_e32 v[34:35], v[10:11], v[34:35]
	v_fma_f64 v[109:110], v[32:33], s[4:5], v[38:39]
	v_fma_f64 v[38:39], v[32:33], s[4:5], -v[38:39]
	v_fma_f64 v[111:112], v[32:33], s[14:15], v[88:89]
	v_fma_f64 v[88:89], v[32:33], s[14:15], -v[88:89]
	;; [unrolled: 2-line block ×5, first 2 shown]
	v_add_f64_e32 v[40:41], v[30:31], v[40:41]
	v_fma_f64 v[96:97], v[36:37], s[4:5], -v[44:45]
	v_fma_f64 v[103:104], v[36:37], s[10:11], -v[0:1]
	v_fma_f64 v[44:45], v[36:37], s[4:5], v[44:45]
	v_fma_f64 v[0:1], v[36:37], s[10:11], v[0:1]
	v_mul_f64_e32 v[36:37], s[34:35], v[8:9]
	v_mul_f64_e32 v[8:9], s[22:23], v[8:9]
	v_add_f64_e32 v[32:33], v[18:19], v[94:95]
	v_add_f64_e32 v[42:43], v[18:19], v[42:43]
	;; [unrolled: 1-line block ×4, first 2 shown]
	v_fma_f64 v[121:122], v[34:35], s[10:11], v[28:29]
	v_fma_f64 v[28:29], v[34:35], s[10:11], -v[28:29]
	v_fma_f64 v[125:126], v[34:35], s[4:5], v[105:106]
	v_fma_f64 v[105:106], v[34:35], s[4:5], -v[105:106]
	;; [unrolled: 2-line block ×3, first 2 shown]
	v_add_f64_e32 v[40:41], v[14:15], v[40:41]
	v_add_f64_e32 v[94:95], v[18:19], v[96:97]
	;; [unrolled: 1-line block ×8, first 2 shown]
	v_mul_f64_e32 v[30:31], s[30:31], v[24:25]
	v_mul_f64_e32 v[103:104], s[28:29], v[24:25]
	;; [unrolled: 1-line block ×3, first 2 shown]
	v_fma_f64 v[123:124], v[34:35], s[16:17], v[36:37]
	v_fma_f64 v[36:37], v[34:35], s[16:17], -v[36:37]
	v_fma_f64 v[129:130], v[34:35], s[14:15], v[8:9]
	v_fma_f64 v[8:9], v[34:35], s[14:15], -v[8:9]
	v_add_f64_e32 v[32:33], v[109:110], v[32:33]
	v_add_f64_e32 v[34:35], v[38:39], v[42:43]
	v_add_f64_e32 v[84:85], v[92:93], v[84:85]
	v_add_f64_e32 v[4:5], v[4:5], v[86:87]
	v_add_f64_e32 v[14:15], v[22:23], v[14:15]
	v_mul_f64_e32 v[92:93], s[20:21], v[12:13]
	v_add_f64_e32 v[40:41], v[22:23], v[40:41]
	v_add_f64_e32 v[38:39], v[88:89], v[94:95]
	;; [unrolled: 1-line block ×7, first 2 shown]
	v_mul_f64_e32 v[22:23], s[26:27], v[12:13]
	v_mul_f64_e32 v[90:91], s[22:23], v[12:13]
	v_fma_f64 v[94:95], v[18:19], s[14:15], v[20:21]
	v_fma_f64 v[20:21], v[18:19], s[14:15], -v[20:21]
	v_fma_f64 v[96:97], v[18:19], s[10:11], v[30:31]
	v_fma_f64 v[30:31], v[18:19], s[10:11], -v[30:31]
	;; [unrolled: 2-line block ×5, first 2 shown]
	v_add_f64_e32 v[24:25], v[121:122], v[32:33]
	v_add_f64_e32 v[28:29], v[28:29], v[34:35]
	;; [unrolled: 1-line block ×4, first 2 shown]
	v_mul_f64_e32 v[40:41], s[24:25], v[12:13]
	v_mul_f64_e32 v[12:13], s[18:19], v[12:13]
	v_add_f64_e32 v[32:33], v[36:37], v[38:39]
	v_add_f64_e32 v[34:35], v[127:128], v[42:43]
	;; [unrolled: 1-line block ×7, first 2 shown]
	v_fma_f64 v[84:85], v[14:15], s[14:15], v[90:91]
	v_fma_f64 v[86:87], v[14:15], s[14:15], -v[90:91]
	v_fma_f64 v[88:89], v[14:15], s[4:5], v[92:93]
	v_fma_f64 v[90:91], v[14:15], s[4:5], -v[92:93]
	v_add_f64_e32 v[20:21], v[20:21], v[28:29]
	v_add_f64_e32 v[18:19], v[18:19], v[4:5]
	;; [unrolled: 1-line block ×3, first 2 shown]
	v_fma_f64 v[26:27], v[14:15], s[16:17], v[22:23]
	v_fma_f64 v[22:23], v[14:15], s[16:17], -v[22:23]
	v_fma_f64 v[44:45], v[14:15], s[12:13], v[40:41]
	v_fma_f64 v[40:41], v[14:15], s[12:13], -v[40:41]
	;; [unrolled: 2-line block ×3, first 2 shown]
	v_add_f64_e32 v[14:15], v[94:95], v[24:25]
	v_add_f64_e32 v[24:25], v[30:31], v[32:33]
	;; [unrolled: 1-line block ×19, first 2 shown]
                                        ; implicit-def: $vgpr28_vgpr29
	v_add_f64_e32 v[2:3], v[2:3], v[6:7]
	ds_store_2addr_b64 v16, v[14:15], v[20:21] offset0:4 offset1:5
	ds_store_2addr_b64 v16, v[12:13], v[22:23] offset0:6 offset1:7
	;; [unrolled: 1-line block ×3, first 2 shown]
	ds_store_b64 v16, v[4:5] offset:80
	ds_store_2addr_b64 v16, v[2:3], v[10:11] offset1:1
	ds_store_2addr_b64 v16, v[8:9], v[0:1] offset0:2 offset1:3
	global_wb scope:SCOPE_SE
	s_wait_dscnt 0x0
	s_barrier_signal -1
	s_barrier_wait -1
	global_inv scope:SCOPE_SE
	ds_load_b64 v[0:1], v100
	ds_load_2addr_b64 v[10:13], v82 offset0:121 offset1:242
	ds_load_2addr_b64 v[18:21], v17 offset0:107 offset1:228
	ds_load_2addr_b64 v[14:17], v83 offset0:93 offset1:214
                                        ; implicit-def: $vgpr8_vgpr9
	s_and_saveexec_b32 s1, s0
	s_cbranch_execz .LBB0_16
; %bb.15:
	v_add_nc_u32_e32 v2, 0x800, v82
	ds_load_2addr_b64 v[24:27], v82 offset0:77 offset1:198
	ds_load_2addr_b64 v[2:5], v2 offset0:63 offset1:184
	v_add_nc_u32_e32 v6, 0x1000, v82
	s_wait_dscnt 0x1
	v_dual_mov_b32 v22, v24 :: v_dual_mov_b32 v23, v25
	s_wait_dscnt 0x0
	v_mov_b32_e32 v25, v3
	ds_load_b64 v[28:29], v82 offset:6424
	ds_load_2addr_b64 v[6:9], v6 offset0:49 offset1:170
	v_mov_b32_e32 v24, v2
.LBB0_16:
	s_wait_alu 0xfffe
	s_or_b32 exec_lo, exec_lo, s1
	v_and_b32_e32 v2, 0xff, v64
	s_mov_b32 s4, 0x37e14327
	s_mov_b32 s12, 0xe976ee23
	s_mov_b32 s5, 0x3fe948f6
	s_mov_b32 s13, 0xbfe11646
	v_mul_lo_u16 v2, 0x75, v2
	s_mov_b32 s10, 0x429ad128
	s_mov_b32 s14, 0x36b3c0b5
	;; [unrolled: 1-line block ×4, first 2 shown]
	v_lshrrev_b16 v2, 8, v2
	s_mov_b32 s16, 0xaaaaaaaa
	s_mov_b32 s22, 0xb247c609
	;; [unrolled: 1-line block ×4, first 2 shown]
	v_sub_nc_u16 v3, v64, v2
	s_mov_b32 s23, 0x3fd5d0dc
	s_mov_b32 s19, 0x3fe77f67
	;; [unrolled: 1-line block ×4, first 2 shown]
	v_lshrrev_b16 v3, 1, v3
	s_wait_alu 0xfffe
	s_mov_b32 s20, s18
	s_mov_b32 s24, s22
	;; [unrolled: 1-line block ×4, first 2 shown]
	v_and_b32_e32 v3, 0x7f, v3
	s_delay_alu instid0(VALU_DEP_1) | instskip(NEXT) | instid1(VALU_DEP_1)
	v_add_nc_u16 v2, v3, v2
	v_lshrrev_b16 v127, 3, v2
	s_delay_alu instid0(VALU_DEP_1) | instskip(NEXT) | instid1(VALU_DEP_1)
	v_mul_lo_u16 v2, v127, 11
	v_sub_nc_u16 v2, v64, v2
	s_delay_alu instid0(VALU_DEP_1) | instskip(NEXT) | instid1(VALU_DEP_1)
	v_and_b32_e32 v128, 0xff, v2
	v_mul_u32_u24_e32 v2, 6, v128
	s_delay_alu instid0(VALU_DEP_1)
	v_lshlrev_b32_e32 v2, 4, v2
	s_clause 0x5
	global_load_b128 v[40:43], v2, s[8:9]
	global_load_b128 v[36:39], v2, s[8:9] offset:16
	global_load_b128 v[82:85], v2, s[8:9] offset:80
	;; [unrolled: 1-line block ×5, first 2 shown]
	v_add_nc_u16 v2, v64, 0x4d
	s_delay_alu instid0(VALU_DEP_1) | instskip(NEXT) | instid1(VALU_DEP_1)
	v_and_b32_e32 v3, 0xff, v2
	v_mul_lo_u16 v3, 0x75, v3
	s_delay_alu instid0(VALU_DEP_1) | instskip(NEXT) | instid1(VALU_DEP_1)
	v_lshrrev_b16 v3, 8, v3
	v_sub_nc_u16 v30, v2, v3
	s_delay_alu instid0(VALU_DEP_1) | instskip(NEXT) | instid1(VALU_DEP_1)
	v_lshrrev_b16 v30, 1, v30
	v_and_b32_e32 v30, 0x7f, v30
	s_delay_alu instid0(VALU_DEP_1) | instskip(NEXT) | instid1(VALU_DEP_1)
	v_add_nc_u16 v3, v30, v3
	v_lshrrev_b16 v129, 3, v3
	s_delay_alu instid0(VALU_DEP_1) | instskip(NEXT) | instid1(VALU_DEP_1)
	v_mul_lo_u16 v3, v129, 11
	v_sub_nc_u16 v2, v2, v3
	s_delay_alu instid0(VALU_DEP_1) | instskip(NEXT) | instid1(VALU_DEP_1)
	v_and_b32_e32 v130, 0xff, v2
	v_mul_u32_u24_e32 v2, 6, v130
	s_delay_alu instid0(VALU_DEP_1)
	v_lshlrev_b32_e32 v2, 4, v2
	s_clause 0x5
	global_load_b128 v[101:104], v2, s[8:9]
	global_load_b128 v[105:108], v2, s[8:9] offset:16
	global_load_b128 v[109:112], v2, s[8:9] offset:32
	;; [unrolled: 1-line block ×5, first 2 shown]
	global_wb scope:SCOPE_SE
	s_wait_loadcnt_dscnt 0x0
	s_barrier_signal -1
	s_barrier_wait -1
	global_inv scope:SCOPE_SE
	v_mul_f64_e32 v[2:3], v[10:11], v[42:43]
	v_mul_f64_e32 v[30:31], v[12:13], v[38:39]
	;; [unrolled: 1-line block ×12, first 2 shown]
	v_fma_f64 v[2:3], v[56:57], v[40:41], -v[2:3]
	v_fma_f64 v[32:33], v[58:59], v[36:37], -v[30:31]
	;; [unrolled: 1-line block ×4, first 2 shown]
	v_fma_f64 v[10:11], v[10:11], v[40:41], v[42:43]
	v_fma_f64 v[36:37], v[12:13], v[36:37], v[38:39]
	v_fma_f64 v[12:13], v[52:53], v[90:91], -v[98:99]
	v_fma_f64 v[18:19], v[18:19], v[90:91], v[92:93]
	v_fma_f64 v[38:39], v[14:15], v[86:87], v[88:89]
	v_fma_f64 v[14:15], v[54:55], v[94:95], -v[125:126]
	v_fma_f64 v[20:21], v[20:21], v[94:95], v[96:97]
	v_fma_f64 v[16:17], v[16:17], v[82:83], v[84:85]
	v_mul_f64_e32 v[86:87], v[67:68], v[107:108]
	v_mul_f64_e32 v[88:89], v[4:5], v[111:112]
	;; [unrolled: 1-line block ×6, first 2 shown]
	v_add_f64_e32 v[40:41], v[2:3], v[30:31]
	v_add_f64_e32 v[42:43], v[32:33], v[34:35]
	v_mul_f64_e32 v[98:99], v[50:51], v[119:120]
	v_mul_f64_e32 v[119:120], v[71:72], v[123:124]
	v_add_f64_e64 v[44:45], v[36:37], -v[38:39]
	v_add_f64_e32 v[52:53], v[12:13], v[14:15]
	v_add_f64_e64 v[54:55], v[20:21], -v[18:19]
	v_add_f64_e64 v[56:57], v[10:11], -v[16:17]
	v_fma_f64 v[50:51], v[50:51], v[117:118], -v[96:97]
	v_add_f64_e32 v[58:59], v[42:43], v[40:41]
	v_add_f64_e64 v[60:61], v[40:41], -v[52:53]
	v_add_f64_e64 v[62:63], v[54:55], -v[44:45]
	;; [unrolled: 1-line block ×3, first 2 shown]
	v_add_f64_e32 v[44:45], v[54:55], v[44:45]
	v_add_f64_e64 v[54:55], v[56:57], -v[54:55]
	v_add_f64_e64 v[40:41], v[42:43], -v[40:41]
	v_add_f64_e32 v[58:59], v[52:53], v[58:59]
	v_add_f64_e64 v[52:53], v[52:53], -v[42:43]
	v_mul_f64_e32 v[60:61], s[4:5], v[60:61]
	v_mul_f64_e32 v[62:63], s[12:13], v[62:63]
	;; [unrolled: 1-line block ×3, first 2 shown]
	v_add_f64_e32 v[44:45], v[44:45], v[56:57]
	v_add_f64_e32 v[73:74], v[73:74], v[58:59]
	v_mul_f64_e32 v[42:43], s[14:15], v[52:53]
	v_fma_f64 v[52:53], v[52:53], s[14:15], v[60:61]
	v_fma_f64 v[56:57], v[54:55], s[22:23], v[62:63]
	v_fma_f64 v[62:63], v[82:83], s[10:11], -v[62:63]
	s_wait_alu 0xfffe
	v_fma_f64 v[54:55], v[54:55], s[24:25], -v[84:85]
	v_fma_f64 v[60:61], v[40:41], s[20:21], -v[60:61]
	v_mul_f64_e32 v[82:83], v[69:70], v[103:104]
	v_mul_f64_e32 v[84:85], v[24:25], v[107:108]
	v_fma_f64 v[58:59], v[58:59], s[16:17], v[73:74]
	v_fma_f64 v[40:41], v[40:41], s[18:19], -v[42:43]
	v_mul_f64_e32 v[42:43], v[26:27], v[103:104]
	v_mul_f64_e32 v[103:104], v[28:29], v[123:124]
	v_fma_f64 v[28:29], v[28:29], v[121:122], v[119:120]
	v_fma_f64 v[107:108], v[44:45], s[26:27], v[56:57]
	;; [unrolled: 1-line block ×6, first 2 shown]
	v_fma_f64 v[26:27], v[67:68], v[105:106], -v[84:85]
	v_add_f64_e32 v[115:116], v[52:53], v[58:59]
	v_add_f64_e32 v[60:61], v[60:61], v[58:59]
	;; [unrolled: 1-line block ×3, first 2 shown]
	v_fma_f64 v[40:41], v[69:70], v[101:102], -v[42:43]
	v_fma_f64 v[52:53], v[24:25], v[105:106], v[86:87]
	v_fma_f64 v[24:25], v[46:47], v[109:110], -v[88:89]
	v_fma_f64 v[46:47], v[4:5], v[109:110], v[90:91]
	v_fma_f64 v[42:43], v[48:49], v[113:114], -v[92:93]
	v_fma_f64 v[48:49], v[6:7], v[113:114], v[94:95]
	v_fma_f64 v[54:55], v[71:72], v[121:122], -v[103:104]
	v_add_f64_e32 v[4:5], v[107:108], v[115:116]
	v_add_f64_e32 v[6:7], v[111:112], v[60:61]
	v_add_f64_e64 v[8:9], v[58:59], -v[62:63]
	v_add_f64_e32 v[67:68], v[62:63], v[58:59]
	v_add_f64_e64 v[69:70], v[60:61], -v[111:112]
	v_add_f64_e64 v[71:72], v[115:116], -v[107:108]
	v_and_b32_e32 v59, 0xffff, v127
	v_lshlrev_b32_e32 v58, 3, v75
	v_lshlrev_b32_e32 v61, 3, v128
	s_delay_alu instid0(VALU_DEP_3) | instskip(SKIP_1) | instid1(VALU_DEP_2)
	v_mad_u32_u24 v60, 0x268, v59, 0
	v_and_b32_e32 v59, 0xffff, v129
	v_add3_u32 v62, v60, v61, v58
	v_lshlrev_b32_e32 v61, 3, v130
	ds_store_2addr_b64 v62, v[73:74], v[4:5] offset1:11
	ds_store_2addr_b64 v62, v[6:7], v[8:9] offset0:22 offset1:33
	ds_store_2addr_b64 v62, v[67:68], v[69:70] offset0:44 offset1:55
	ds_store_b64 v62, v[71:72] offset:528
	s_and_saveexec_b32 s1, s0
	s_cbranch_execz .LBB0_18
; %bb.17:
	v_add_f64_e32 v[4:5], v[26:27], v[50:51]
	v_add_f64_e32 v[6:7], v[40:41], v[54:55]
	v_add_f64_e64 v[8:9], v[48:49], -v[46:47]
	v_add_f64_e64 v[67:68], v[52:53], -v[56:57]
	v_add_f64_e32 v[69:70], v[24:25], v[42:43]
	v_add_f64_e64 v[71:72], v[44:45], -v[28:29]
	v_mad_u32_u24 v60, 0x268, v59, 0
	s_delay_alu instid0(VALU_DEP_1)
	v_add3_u32 v60, v60, v61, v58
	v_add_f64_e32 v[73:74], v[4:5], v[6:7]
	v_add_f64_e64 v[82:83], v[8:9], -v[67:68]
	v_add_f64_e64 v[84:85], v[6:7], -v[69:70]
	;; [unrolled: 1-line block ×3, first 2 shown]
	v_add_f64_e32 v[67:68], v[8:9], v[67:68]
	v_add_f64_e64 v[8:9], v[71:72], -v[8:9]
	v_add_f64_e32 v[73:74], v[69:70], v[73:74]
	v_add_f64_e64 v[69:70], v[69:70], -v[4:5]
	v_add_f64_e64 v[4:5], v[4:5], -v[6:7]
	v_mul_f64_e32 v[6:7], s[12:13], v[82:83]
	v_mul_f64_e32 v[82:83], s[4:5], v[84:85]
	;; [unrolled: 1-line block ×3, first 2 shown]
	v_add_f64_e32 v[67:68], v[67:68], v[71:72]
	v_add_f64_e32 v[65:66], v[65:66], v[73:74]
	v_mul_f64_e32 v[88:89], s[14:15], v[69:70]
	v_fma_f64 v[71:72], v[8:9], s[22:23], v[6:7]
	v_fma_f64 v[69:70], v[69:70], s[14:15], v[82:83]
	v_fma_f64 v[90:91], v[4:5], s[20:21], -v[82:83]
	v_fma_f64 v[8:9], v[8:9], s[24:25], -v[84:85]
	v_fma_f64 v[6:7], v[86:87], s[10:11], -v[6:7]
	v_fma_f64 v[73:74], v[73:74], s[16:17], v[65:66]
	v_fma_f64 v[4:5], v[4:5], s[18:19], -v[88:89]
	v_fma_f64 v[71:72], v[67:68], s[26:27], v[71:72]
	v_fma_f64 v[8:9], v[67:68], s[26:27], v[8:9]
	;; [unrolled: 1-line block ×3, first 2 shown]
	v_add_f64_e32 v[69:70], v[69:70], v[73:74]
	v_add_f64_e32 v[67:68], v[90:91], v[73:74]
	;; [unrolled: 1-line block ×3, first 2 shown]
	s_delay_alu instid0(VALU_DEP_3) | instskip(NEXT) | instid1(VALU_DEP_3)
	v_add_f64_e32 v[84:85], v[71:72], v[69:70]
	v_add_f64_e64 v[73:74], v[67:68], -v[8:9]
	s_delay_alu instid0(VALU_DEP_3)
	v_add_f64_e64 v[82:83], v[4:5], -v[6:7]
	v_add_f64_e32 v[8:9], v[8:9], v[67:68]
	v_add_f64_e32 v[4:5], v[6:7], v[4:5]
	v_add_f64_e64 v[6:7], v[69:70], -v[71:72]
	ds_store_2addr_b64 v60, v[65:66], v[84:85] offset1:11
	ds_store_2addr_b64 v60, v[8:9], v[82:83] offset0:22 offset1:33
	ds_store_2addr_b64 v60, v[4:5], v[73:74] offset0:44 offset1:55
	ds_store_b64 v60, v[6:7] offset:528
.LBB0_18:
	s_wait_alu 0xfffe
	s_or_b32 exec_lo, exec_lo, s1
	v_add_f64_e32 v[4:5], v[10:11], v[16:17]
	v_add_f64_e32 v[6:7], v[36:37], v[38:39]
	v_add_f64_e64 v[8:9], v[32:33], -v[34:35]
	v_add_f64_e32 v[10:11], v[18:19], v[20:21]
	v_add_f64_e64 v[12:13], v[14:15], -v[12:13]
	v_add_f64_e64 v[2:3], v[2:3], -v[30:31]
	global_wb scope:SCOPE_SE
	s_wait_dscnt 0x0
	s_barrier_signal -1
	s_barrier_wait -1
	global_inv scope:SCOPE_SE
	ds_load_b64 v[82:83], v100
	v_add_f64_e32 v[14:15], v[6:7], v[4:5]
	v_add_f64_e64 v[16:17], v[4:5], -v[10:11]
	v_add_f64_e64 v[18:19], v[12:13], -v[8:9]
	;; [unrolled: 1-line block ×3, first 2 shown]
	v_add_f64_e32 v[8:9], v[12:13], v[8:9]
	v_add_f64_e64 v[12:13], v[2:3], -v[12:13]
	v_add_f64_e32 v[14:15], v[10:11], v[14:15]
	v_add_f64_e64 v[10:11], v[10:11], -v[6:7]
	v_mul_f64_e32 v[16:17], s[4:5], v[16:17]
	v_mul_f64_e32 v[18:19], s[12:13], v[18:19]
	;; [unrolled: 1-line block ×3, first 2 shown]
	v_add_f64_e32 v[2:3], v[8:9], v[2:3]
	v_add_f64_e32 v[32:33], v[0:1], v[14:15]
	v_add_f64_e64 v[0:1], v[6:7], -v[4:5]
	v_mul_f64_e32 v[4:5], s[14:15], v[10:11]
	v_fma_f64 v[6:7], v[10:11], s[14:15], v[16:17]
	v_fma_f64 v[8:9], v[12:13], s[22:23], v[18:19]
	v_fma_f64 v[10:11], v[20:21], s[10:11], -v[18:19]
	v_fma_f64 v[12:13], v[12:13], s[24:25], -v[30:31]
	v_fma_f64 v[14:15], v[14:15], s[16:17], v[32:33]
	v_fma_f64 v[16:17], v[0:1], s[20:21], -v[16:17]
	v_fma_f64 v[0:1], v[0:1], s[18:19], -v[4:5]
	v_fma_f64 v[4:5], v[2:3], s[26:27], v[8:9]
	v_fma_f64 v[8:9], v[2:3], s[26:27], v[10:11]
	;; [unrolled: 1-line block ×3, first 2 shown]
	v_add_f64_e32 v[6:7], v[6:7], v[14:15]
	v_add_f64_e32 v[10:11], v[16:17], v[14:15]
	;; [unrolled: 1-line block ×3, first 2 shown]
	s_delay_alu instid0(VALU_DEP_3) | instskip(NEXT) | instid1(VALU_DEP_3)
	v_add_f64_e64 v[20:21], v[6:7], -v[4:5]
	v_add_f64_e64 v[30:31], v[10:11], -v[2:3]
	s_delay_alu instid0(VALU_DEP_3) | instskip(SKIP_4) | instid1(VALU_DEP_3)
	v_add_f64_e32 v[34:35], v[8:9], v[0:1]
	v_add_f64_e64 v[36:37], v[0:1], -v[8:9]
	v_lshlrev_b32_e32 v0, 3, v64
	v_add_f64_e32 v[38:39], v[2:3], v[10:11]
	v_add_f64_e32 v[65:66], v[4:5], v[6:7]
	v_add3_u32 v60, 0, v0, v58
	s_delay_alu instid0(VALU_DEP_1)
	v_add_nc_u32_e32 v0, 0x400, v60
	v_add_nc_u32_e32 v1, 0x800, v60
	v_add_nc_u32_e32 v4, 0x1000, v60
	v_add_nc_u32_e32 v5, 0x1400, v60
	ds_load_2addr_b64 v[16:19], v60 offset0:77 offset1:154
	ds_load_2addr_b64 v[8:11], v0 offset0:103 offset1:180
	;; [unrolled: 1-line block ×5, first 2 shown]
	global_wb scope:SCOPE_SE
	s_wait_dscnt 0x0
	s_barrier_signal -1
	s_barrier_wait -1
	global_inv scope:SCOPE_SE
	ds_store_2addr_b64 v62, v[32:33], v[20:21] offset1:11
	ds_store_2addr_b64 v62, v[30:31], v[34:35] offset0:22 offset1:33
	ds_store_2addr_b64 v62, v[36:37], v[38:39] offset0:44 offset1:55
	ds_store_b64 v62, v[65:66] offset:528
	s_and_saveexec_b32 s1, s0
	s_cbranch_execz .LBB0_20
; %bb.19:
	v_add_f64_e32 v[20:21], v[44:45], v[28:29]
	v_add_f64_e32 v[28:29], v[52:53], v[56:57]
	;; [unrolled: 1-line block ×3, first 2 shown]
	v_add_f64_e64 v[26:27], v[26:27], -v[50:51]
	v_add_f64_e64 v[24:25], v[42:43], -v[24:25]
	;; [unrolled: 1-line block ×3, first 2 shown]
	s_mov_b32 s10, 0x36b3c0b5
	s_mov_b32 s11, 0x3fac98ee
	;; [unrolled: 1-line block ×6, first 2 shown]
	v_add_f64_e32 v[34:35], v[28:29], v[20:21]
	v_add_f64_e64 v[36:37], v[20:21], -v[30:31]
	v_add_f64_e64 v[38:39], v[30:31], -v[28:29]
	;; [unrolled: 1-line block ×5, first 2 shown]
	v_add_f64_e32 v[26:27], v[24:25], v[26:27]
	v_add_f64_e64 v[24:25], v[32:33], -v[24:25]
	v_add_f64_e32 v[30:31], v[30:31], v[34:35]
	v_mul_f64_e32 v[28:29], s[4:5], v[36:37]
	s_mov_b32 s4, 0x429ad128
	v_mul_f64_e32 v[36:37], s[12:13], v[40:41]
	s_mov_b32 s5, 0x3febfeb5
	s_wait_alu 0xfffe
	v_mul_f64_e32 v[34:35], s[10:11], v[38:39]
	v_mul_f64_e32 v[40:41], s[4:5], v[42:43]
	s_mov_b32 s12, 0xaaaaaaaa
	s_mov_b32 s13, 0xbff2aaaa
	v_add_f64_e32 v[26:27], v[26:27], v[32:33]
	v_add_f64_e32 v[22:23], v[22:23], v[30:31]
	v_fma_f64 v[32:33], v[38:39], s[10:11], v[28:29]
	v_fma_f64 v[38:39], v[24:25], s[16:17], v[36:37]
	s_mov_b32 s17, 0xbfd5d0dc
	v_fma_f64 v[34:35], v[20:21], s[14:15], -v[34:35]
	s_mov_b32 s15, 0xbfe77f67
	v_fma_f64 v[36:37], v[42:43], s[4:5], -v[36:37]
	s_wait_alu 0xfffe
	v_fma_f64 v[24:25], v[24:25], s[16:17], -v[40:41]
	v_fma_f64 v[20:21], v[20:21], s[14:15], -v[28:29]
	s_mov_b32 s4, 0x37c3f68c
	s_mov_b32 s5, 0x3fdc38aa
	v_fma_f64 v[30:31], v[30:31], s[12:13], v[22:23]
	s_wait_alu 0xfffe
	v_fma_f64 v[28:29], v[26:27], s[4:5], v[38:39]
	v_fma_f64 v[36:37], v[26:27], s[4:5], v[36:37]
	;; [unrolled: 1-line block ×3, first 2 shown]
	s_delay_alu instid0(VALU_DEP_4) | instskip(SKIP_2) | instid1(VALU_DEP_3)
	v_add_f64_e32 v[26:27], v[32:33], v[30:31]
	v_add_f64_e32 v[20:21], v[20:21], v[30:31]
	;; [unrolled: 1-line block ×3, first 2 shown]
	v_add_f64_e64 v[32:33], v[26:27], -v[28:29]
	s_delay_alu instid0(VALU_DEP_3) | instskip(NEXT) | instid1(VALU_DEP_3)
	v_add_f64_e64 v[34:35], v[20:21], -v[24:25]
	v_add_f64_e32 v[38:39], v[36:37], v[30:31]
	v_add_f64_e64 v[30:31], v[30:31], -v[36:37]
	v_add_f64_e32 v[20:21], v[24:25], v[20:21]
	v_add_f64_e32 v[24:25], v[28:29], v[26:27]
	v_mad_u32_u24 v26, 0x268, v59, 0
	s_delay_alu instid0(VALU_DEP_1)
	v_add3_u32 v26, v26, v61, v58
	ds_store_2addr_b64 v26, v[22:23], v[32:33] offset1:11
	ds_store_2addr_b64 v26, v[34:35], v[38:39] offset0:22 offset1:33
	ds_store_2addr_b64 v26, v[30:31], v[20:21] offset0:44 offset1:55
	ds_store_b64 v26, v[24:25] offset:528
.LBB0_20:
	s_wait_alu 0xfffe
	s_or_b32 exec_lo, exec_lo, s1
	global_wb scope:SCOPE_SE
	s_wait_dscnt 0x0
	s_barrier_signal -1
	s_barrier_wait -1
	global_inv scope:SCOPE_SE
	s_and_saveexec_b32 s0, vcc_lo
	s_cbranch_execz .LBB0_22
; %bb.21:
	v_mul_u32_u24_e32 v20, 10, v64
	v_add_nc_u32_e32 v61, 0x400, v60
	v_add_nc_u32_e32 v63, 0x1400, v60
	;; [unrolled: 1-line block ×3, first 2 shown]
	s_mov_b32 s0, 0xd9c712b6
	v_lshlrev_b32_e32 v20, 4, v20
	s_mov_b32 s16, 0x8eee2c13
	s_mov_b32 s12, 0xbb3a28a1
	;; [unrolled: 1-line block ×4, first 2 shown]
	s_clause 0x9
	global_load_b128 v[101:104], v20, s[8:9] offset:1056
	global_load_b128 v[36:39], v20, s[8:9] offset:1104
	;; [unrolled: 1-line block ×10, first 2 shown]
	ds_load_2addr_b64 v[56:59], v60 offset0:77 offset1:154
	ds_load_2addr_b64 v[64:67], v61 offset0:103 offset1:180
	;; [unrolled: 1-line block ×4, first 2 shown]
	v_add_nc_u32_e32 v60, 0x800, v60
	s_mov_b32 s8, 0x640f44db
	s_mov_b32 s9, 0xbfc2375f
	;; [unrolled: 1-line block ×4, first 2 shown]
	ds_load_2addr_b64 v[60:63], v60 offset0:129 offset1:206
	s_mov_b32 s4, 0x7f775887
	s_mov_b32 s13, 0x3fe82f19
	;; [unrolled: 1-line block ×8, first 2 shown]
	s_wait_alu 0xfffe
	s_mov_b32 s26, s12
	s_mov_b32 s24, s18
	;; [unrolled: 1-line block ×8, first 2 shown]
	s_wait_alu 0xfffe
	s_mov_b32 s22, s20
	s_mov_b32 s29, 0x3fed1bb4
	;; [unrolled: 1-line block ×3, first 2 shown]
	s_wait_loadcnt 0x9
	v_mul_f64_e32 v[105:106], v[16:17], v[103:104]
	s_wait_dscnt 0x4
	v_mul_f64_e32 v[103:104], v[56:57], v[103:104]
	s_wait_loadcnt 0x8
	v_mul_f64_e32 v[84:85], v[10:11], v[38:39]
	s_wait_loadcnt 0x7
	;; [unrolled: 2-line block ×4, first 2 shown]
	v_mul_f64_e32 v[92:93], v[18:19], v[54:55]
	v_mul_f64_e32 v[98:99], v[58:59], v[54:55]
	s_wait_loadcnt 0x2
	v_mul_f64_e32 v[96:97], v[6:7], v[46:47]
	v_mul_f64_e32 v[88:89], v[8:9], v[42:43]
	s_wait_dscnt 0x3
	v_mul_f64_e32 v[38:39], v[66:67], v[38:39]
	s_wait_dscnt 0x2
	v_mul_f64_e32 v[34:35], v[68:69], v[34:35]
	v_mul_f64_e32 v[42:43], v[64:65], v[42:43]
	v_mul_f64_e32 v[94:95], v[4:5], v[50:51]
	s_wait_dscnt 0x1
	v_mul_f64_e32 v[50:51], v[72:73], v[50:51]
	v_fma_f64 v[54:55], v[56:57], v[101:102], v[105:106]
	v_fma_f64 v[16:17], v[16:17], v[101:102], -v[103:104]
	v_mul_f64_e32 v[56:57], v[70:71], v[30:31]
	v_mul_f64_e32 v[30:31], v[74:75], v[46:47]
	ds_load_b64 v[46:47], v100
	v_fma_f64 v[66:67], v[66:67], v[36:37], v[84:85]
	v_fma_f64 v[58:59], v[58:59], v[52:53], v[92:93]
	v_fma_f64 v[18:19], v[18:19], v[52:53], -v[98:99]
	s_wait_loadcnt 0x1
	v_mul_f64_e32 v[100:101], v[0:1], v[26:27]
	s_wait_dscnt 0x1
	v_mul_f64_e32 v[26:27], v[60:61], v[26:27]
	v_fma_f64 v[74:75], v[74:75], v[44:45], v[96:97]
	v_fma_f64 v[68:69], v[68:69], v[32:33], v[86:87]
	;; [unrolled: 1-line block ×3, first 2 shown]
	v_fma_f64 v[12:13], v[12:13], v[32:33], -v[34:35]
	v_fma_f64 v[8:9], v[8:9], v[40:41], -v[42:43]
	s_wait_loadcnt 0x0
	v_mul_f64_e32 v[102:103], v[2:3], v[22:23]
	v_mul_f64_e32 v[22:23], v[62:63], v[22:23]
	v_fma_f64 v[70:71], v[70:71], v[28:29], v[90:91]
	v_fma_f64 v[72:73], v[72:73], v[48:49], v[94:95]
	v_fma_f64 v[10:11], v[10:11], v[36:37], -v[38:39]
	v_fma_f64 v[4:5], v[4:5], v[48:49], -v[50:51]
	s_wait_dscnt 0x0
	v_add_f64_e32 v[52:53], v[46:47], v[54:55]
	v_add_f64_e32 v[84:85], v[82:83], v[16:17]
	v_fma_f64 v[14:15], v[14:15], v[28:29], -v[56:57]
	v_fma_f64 v[40:41], v[6:7], v[44:45], -v[30:31]
	v_fma_f64 v[6:7], v[60:61], v[24:25], v[100:101]
	v_fma_f64 v[0:1], v[0:1], v[24:25], -v[26:27]
	v_add_f64_e32 v[26:27], v[54:55], v[74:75]
	v_add_f64_e64 v[44:45], v[54:55], -v[74:75]
	v_add_f64_e64 v[34:35], v[66:67], -v[68:69]
	v_fma_f64 v[28:29], v[62:63], v[20:21], v[102:103]
	v_fma_f64 v[2:3], v[2:3], v[20:21], -v[22:23]
	v_add_f64_e32 v[22:23], v[64:65], v[70:71]
	v_add_f64_e32 v[24:25], v[58:59], v[72:73]
	v_add_f64_e64 v[54:55], v[64:65], -v[70:71]
	v_add_f64_e32 v[20:21], v[66:67], v[68:69]
	v_add_f64_e64 v[42:43], v[18:19], -v[4:5]
	v_add_f64_e64 v[36:37], v[10:11], -v[12:13]
	v_add_f64_e32 v[50:51], v[10:11], v[12:13]
	v_add_f64_e32 v[30:31], v[58:59], v[52:53]
	;; [unrolled: 1-line block ×3, first 2 shown]
	v_add_f64_e64 v[38:39], v[8:9], -v[14:15]
	v_add_f64_e32 v[56:57], v[8:9], v[14:15]
	v_add_f64_e64 v[48:49], v[16:17], -v[40:41]
	v_add_f64_e32 v[16:17], v[16:17], v[40:41]
	;; [unrolled: 2-line block ×3, first 2 shown]
	v_mul_f64_e32 v[92:93], s[14:15], v[26:27]
	v_mul_f64_e32 v[108:109], s[8:9], v[26:27]
	;; [unrolled: 1-line block ×12, first 2 shown]
	v_add_f64_e32 v[58:59], v[6:7], v[28:29]
	v_add_f64_e64 v[60:61], v[6:7], -v[28:29]
	v_add_f64_e64 v[62:63], v[0:1], -v[2:3]
	v_add_f64_e32 v[84:85], v[0:1], v[2:3]
	v_mul_f64_e32 v[88:89], s[4:5], v[22:23]
	v_mul_f64_e32 v[96:97], s[10:11], v[22:23]
	;; [unrolled: 1-line block ×7, first 2 shown]
	s_wait_alu 0xfffe
	v_mul_f64_e32 v[142:143], s[28:29], v[54:55]
	v_mul_f64_e32 v[144:145], s[18:19], v[54:55]
	;; [unrolled: 1-line block ×5, first 2 shown]
	v_add_f64_e32 v[30:31], v[64:65], v[30:31]
	v_add_f64_e32 v[8:9], v[8:9], v[32:33]
	v_mul_f64_e32 v[64:65], s[0:1], v[26:27]
	v_mul_f64_e32 v[26:27], s[10:11], v[26:27]
	;; [unrolled: 1-line block ×9, first 2 shown]
	v_fma_f64 v[164:165], v[48:49], s[18:19], v[92:93]
	v_fma_f64 v[92:93], v[48:49], s[24:25], v[92:93]
	;; [unrolled: 1-line block ×3, first 2 shown]
	v_fma_f64 v[122:123], v[16:17], s[14:15], -v[122:123]
	v_fma_f64 v[182:183], v[16:17], s[4:5], v[124:125]
	v_fma_f64 v[184:185], v[48:49], s[30:31], v[108:109]
	;; [unrolled: 1-line block ×4, first 2 shown]
	v_fma_f64 v[190:191], v[16:17], s[0:1], -v[128:129]
	v_fma_f64 v[172:173], v[48:49], s[12:13], v[100:101]
	v_fma_f64 v[100:101], v[48:49], s[26:27], v[100:101]
	v_fma_f64 v[124:125], v[16:17], s[4:5], -v[124:125]
	v_fma_f64 v[126:127], v[16:17], s[8:9], -v[126:127]
	v_fma_f64 v[128:129], v[16:17], s[0:1], v[128:129]
	v_fma_f64 v[194:195], v[16:17], s[10:11], v[44:45]
	v_fma_f64 v[16:17], v[16:17], s[10:11], -v[44:45]
	v_fma_f64 v[162:163], v[42:43], s[20:21], v[90:91]
	v_fma_f64 v[90:91], v[42:43], s[22:23], v[90:91]
	;; [unrolled: 1-line block ×6, first 2 shown]
	v_mul_f64_e32 v[102:103], s[10:11], v[20:21]
	v_mul_f64_e32 v[114:115], s[28:29], v[34:35]
	;; [unrolled: 1-line block ×5, first 2 shown]
	v_add_f64_e32 v[30:31], v[66:67], v[30:31]
	v_add_f64_e32 v[8:9], v[10:11], v[8:9]
	v_fma_f64 v[188:189], v[48:49], s[16:17], v[64:65]
	v_fma_f64 v[64:65], v[48:49], s[28:29], v[64:65]
	;; [unrolled: 1-line block ×9, first 2 shown]
	v_fma_f64 v[136:137], v[18:19], s[4:5], -v[136:137]
	v_fma_f64 v[198:199], v[18:19], s[0:1], v[52:53]
	v_add_f64_e32 v[92:93], v[46:47], v[92:93]
	v_add_f64_e32 v[122:123], v[82:83], v[122:123]
	v_mul_f64_e32 v[120:121], s[30:31], v[34:35]
	v_fma_f64 v[66:67], v[38:39], s[12:13], v[88:89]
	v_fma_f64 v[88:89], v[38:39], s[26:27], v[88:89]
	v_add_f64_e32 v[108:109], v[46:47], v[108:109]
	v_fma_f64 v[168:169], v[38:39], s[22:23], v[96:97]
	v_add_f64_e32 v[172:173], v[46:47], v[172:173]
	v_add_f64_e32 v[100:101], v[46:47], v[100:101]
	;; [unrolled: 1-line block ×5, first 2 shown]
	v_fma_f64 v[96:97], v[38:39], s[20:21], v[96:97]
	v_add_f64_e32 v[16:17], v[82:83], v[16:17]
	v_fma_f64 v[200:201], v[56:57], s[14:15], v[144:145]
	v_fma_f64 v[144:145], v[56:57], s[14:15], -v[144:145]
	v_fma_f64 v[202:203], v[56:57], s[8:9], v[54:55]
	v_fma_f64 v[54:55], v[56:57], s[8:9], -v[54:55]
	v_mul_f64_e32 v[34:35], s[26:27], v[34:35]
	v_mul_f64_e32 v[148:149], s[34:35], v[60:61]
	;; [unrolled: 1-line block ×5, first 2 shown]
	v_fma_f64 v[10:11], v[36:37], s[16:17], v[86:87]
	v_fma_f64 v[86:87], v[36:37], s[28:29], v[86:87]
	v_add_f64_e32 v[6:7], v[6:7], v[30:31]
	v_add_f64_e32 v[0:1], v[0:1], v[8:9]
	v_fma_f64 v[8:9], v[38:39], s[28:29], v[104:105]
	v_fma_f64 v[30:31], v[42:43], s[18:19], v[106:107]
	;; [unrolled: 1-line block ×3, first 2 shown]
	v_fma_f64 v[104:105], v[18:19], s[10:11], -v[130:131]
	v_fma_f64 v[106:107], v[18:19], s[8:9], v[132:133]
	v_fma_f64 v[130:131], v[18:19], s[8:9], -v[132:133]
	v_fma_f64 v[132:133], v[18:19], s[14:15], v[134:135]
	v_fma_f64 v[134:135], v[18:19], s[14:15], -v[134:135]
	v_fma_f64 v[18:19], v[18:19], s[0:1], -v[52:53]
	v_add_f64_e32 v[52:53], v[46:47], v[164:165]
	v_add_f64_e32 v[164:165], v[82:83], v[176:177]
	;; [unrolled: 1-line block ×11, first 2 shown]
	v_fma_f64 v[46:47], v[36:37], s[30:31], v[110:111]
	v_fma_f64 v[82:83], v[38:39], s[18:19], v[112:113]
	v_fma_f64 v[194:195], v[56:57], s[0:1], v[142:143]
	v_fma_f64 v[142:143], v[56:57], s[0:1], -v[142:143]
	v_add_f64_e32 v[98:99], v[98:99], v[100:101]
	v_fma_f64 v[166:167], v[36:37], s[18:19], v[94:95]
	v_fma_f64 v[94:95], v[36:37], s[24:25], v[94:95]
	;; [unrolled: 1-line block ×4, first 2 shown]
	v_mul_f64_e32 v[146:147], s[8:9], v[58:59]
	v_mul_f64_e32 v[150:151], s[0:1], v[58:59]
	;; [unrolled: 1-line block ×6, first 2 shown]
	v_add_f64_e32 v[6:7], v[28:29], v[6:7]
	v_add_f64_e32 v[0:1], v[2:3], v[0:1]
	v_fma_f64 v[2:3], v[36:37], s[34:35], v[110:111]
	v_fma_f64 v[28:29], v[38:39], s[24:25], v[112:113]
	;; [unrolled: 1-line block ×5, first 2 shown]
	v_fma_f64 v[112:113], v[56:57], s[4:5], -v[138:139]
	v_fma_f64 v[138:139], v[56:57], s[10:11], v[140:141]
	v_fma_f64 v[140:141], v[56:57], s[10:11], -v[140:141]
	v_add_f64_e32 v[56:57], v[90:91], v[92:93]
	v_add_f64_e32 v[90:91], v[104:105], v[122:123]
	v_add_f64_e32 v[42:43], v[42:43], v[164:165]
	v_add_f64_e32 v[104:105], v[106:107], v[176:177]
	v_add_f64_e32 v[30:31], v[30:31], v[108:109]
	v_add_f64_e32 v[100:101], v[130:131], v[124:125]
	v_add_f64_e32 v[32:33], v[32:33], v[186:187]
	v_add_f64_e32 v[108:109], v[136:137], v[188:189]
	v_add_f64_e32 v[124:125], v[134:135], v[126:127]
	v_add_f64_e32 v[52:53], v[162:163], v[52:53]
	v_add_f64_e32 v[92:93], v[170:171], v[172:173]
	v_add_f64_e32 v[106:107], v[180:181], v[182:183]
	v_add_f64_e32 v[122:123], v[132:133], v[184:185]
	v_add_f64_e32 v[44:45], v[44:45], v[64:65]
	v_add_f64_e32 v[64:65], v[196:197], v[128:129]
	v_add_f64_e32 v[24:25], v[24:25], v[26:27]
	v_add_f64_e32 v[16:17], v[18:19], v[16:17]
	v_add_f64_e32 v[48:49], v[48:49], v[190:191]
	v_add_f64_e32 v[126:127], v[198:199], v[192:193]
	v_fma_f64 v[18:19], v[36:37], s[26:27], v[20:21]
	v_fma_f64 v[26:27], v[50:51], s[0:1], -v[114:115]
	v_fma_f64 v[128:129], v[50:51], s[4:5], v[34:35]
	v_fma_f64 v[34:35], v[50:51], s[4:5], -v[34:35]
	v_fma_f64 v[134:135], v[84:85], s[8:9], -v[148:149]
	v_fma_f64 v[130:131], v[84:85], s[8:9], v[148:149]
	v_fma_f64 v[132:133], v[62:63], s[34:35], v[146:147]
	v_add_f64_e32 v[6:7], v[68:69], v[6:7]
	v_add_f64_e32 v[0:1], v[12:13], v[0:1]
	v_fma_f64 v[12:13], v[36:37], s[12:13], v[20:21]
	v_fma_f64 v[20:21], v[50:51], s[0:1], v[114:115]
	;; [unrolled: 1-line block ×3, first 2 shown]
	v_fma_f64 v[68:69], v[50:51], s[14:15], -v[116:117]
	v_fma_f64 v[114:115], v[50:51], s[10:11], v[118:119]
	v_fma_f64 v[116:117], v[50:51], s[10:11], -v[118:119]
	v_fma_f64 v[118:119], v[50:51], s[8:9], v[120:121]
	;; [unrolled: 2-line block ×3, first 2 shown]
	v_add_f64_e32 v[38:39], v[38:39], v[42:43]
	v_add_f64_e32 v[42:43], v[88:89], v[56:57]
	;; [unrolled: 1-line block ×20, first 2 shown]
	v_fma_f64 v[24:25], v[84:85], s[0:1], v[152:153]
	v_fma_f64 v[122:123], v[62:63], s[22:23], v[158:159]
	v_fma_f64 v[124:125], v[84:85], s[10:11], -v[160:161]
	v_fma_f64 v[54:55], v[62:63], s[28:29], v[150:151]
	v_fma_f64 v[100:101], v[62:63], s[12:13], v[154:155]
	;; [unrolled: 1-line block ×3, first 2 shown]
	v_add_f64_e32 v[6:7], v[70:71], v[6:7]
	v_add_f64_e32 v[0:1], v[14:15], v[0:1]
	v_fma_f64 v[14:15], v[62:63], s[16:17], v[150:151]
	v_fma_f64 v[70:71], v[84:85], s[0:1], -v[152:153]
	v_fma_f64 v[106:107], v[62:63], s[26:27], v[154:155]
	v_fma_f64 v[108:109], v[84:85], s[4:5], -v[156:157]
	v_fma_f64 v[110:111], v[62:63], s[20:21], v[158:159]
	v_fma_f64 v[112:113], v[84:85], s[10:11], v[160:161]
	;; [unrolled: 1-line block ×5, first 2 shown]
	v_fma_f64 v[60:61], v[84:85], s[14:15], -v[60:61]
	v_add_f64_e32 v[20:21], v[20:21], v[38:39]
	v_add_f64_e32 v[38:39], v[86:87], v[42:43]
	;; [unrolled: 1-line block ×20, first 2 shown]
	v_mul_lo_u32 v90, s3, v78
	v_mul_lo_u32 v91, s2, v79
	v_mad_co_u64_u32 v[78:79], null, s2, v78, 0
	v_add_f64_e32 v[72:73], v[72:73], v[6:7]
	v_add_f64_e32 v[88:89], v[4:5], v[0:1]
	s_delay_alu instid0(VALU_DEP_3)
	v_add3_u32 v79, v79, v91, v90
	v_add_f64_e32 v[0:1], v[130:131], v[20:21]
	v_add_f64_e32 v[6:7], v[132:133], v[38:39]
	;; [unrolled: 1-line block ×20, first 2 shown]
	v_lshlrev_b64_e32 v[44:45], 4, v[78:79]
	v_lshlrev_b64_e32 v[46:47], 4, v[76:77]
	s_delay_alu instid0(VALU_DEP_2)
	v_add_co_u32 v48, vcc_lo, s6, v44
	v_add_f64_e32 v[42:43], v[74:75], v[72:73]
	v_add_f64_e32 v[40:41], v[40:41], v[88:89]
	s_wait_alu 0xfffd
	v_add_co_ci_u32_e32 v49, vcc_lo, s7, v45, vcc_lo
	v_lshlrev_b64_e32 v[44:45], 4, v[80:81]
	v_add_co_u32 v46, vcc_lo, v48, v46
	s_wait_alu 0xfffd
	s_delay_alu instid0(VALU_DEP_3) | instskip(NEXT) | instid1(VALU_DEP_2)
	v_add_co_ci_u32_e32 v47, vcc_lo, v49, v47, vcc_lo
	v_add_co_u32 v44, vcc_lo, v46, v44
	s_wait_alu 0xfffd
	s_delay_alu instid0(VALU_DEP_2)
	v_add_co_ci_u32_e32 v45, vcc_lo, v47, v45, vcc_lo
	s_clause 0xa
	global_store_b128 v[44:45], v[24:27], off offset:2464
	global_store_b128 v[44:45], v[20:23], off offset:3696
	;; [unrolled: 1-line block ×9, first 2 shown]
	global_store_b128 v[44:45], v[40:43], off
	global_store_b128 v[44:45], v[32:35], off offset:12320
.LBB0_22:
	s_nop 0
	s_sendmsg sendmsg(MSG_DEALLOC_VGPRS)
	s_endpgm
	.section	.rodata,"a",@progbits
	.p2align	6, 0x0
	.amdhsa_kernel fft_rtc_fwd_len847_factors_11_7_11_wgs_231_tpt_77_halfLds_dp_op_CI_CI_unitstride_sbrr_dirReg
		.amdhsa_group_segment_fixed_size 0
		.amdhsa_private_segment_fixed_size 0
		.amdhsa_kernarg_size 104
		.amdhsa_user_sgpr_count 2
		.amdhsa_user_sgpr_dispatch_ptr 0
		.amdhsa_user_sgpr_queue_ptr 0
		.amdhsa_user_sgpr_kernarg_segment_ptr 1
		.amdhsa_user_sgpr_dispatch_id 0
		.amdhsa_user_sgpr_private_segment_size 0
		.amdhsa_wavefront_size32 1
		.amdhsa_uses_dynamic_stack 0
		.amdhsa_enable_private_segment 0
		.amdhsa_system_sgpr_workgroup_id_x 1
		.amdhsa_system_sgpr_workgroup_id_y 0
		.amdhsa_system_sgpr_workgroup_id_z 0
		.amdhsa_system_sgpr_workgroup_info 0
		.amdhsa_system_vgpr_workitem_id 0
		.amdhsa_next_free_vgpr 204
		.amdhsa_next_free_sgpr 39
		.amdhsa_reserve_vcc 1
		.amdhsa_float_round_mode_32 0
		.amdhsa_float_round_mode_16_64 0
		.amdhsa_float_denorm_mode_32 3
		.amdhsa_float_denorm_mode_16_64 3
		.amdhsa_fp16_overflow 0
		.amdhsa_workgroup_processor_mode 1
		.amdhsa_memory_ordered 1
		.amdhsa_forward_progress 0
		.amdhsa_round_robin_scheduling 0
		.amdhsa_exception_fp_ieee_invalid_op 0
		.amdhsa_exception_fp_denorm_src 0
		.amdhsa_exception_fp_ieee_div_zero 0
		.amdhsa_exception_fp_ieee_overflow 0
		.amdhsa_exception_fp_ieee_underflow 0
		.amdhsa_exception_fp_ieee_inexact 0
		.amdhsa_exception_int_div_zero 0
	.end_amdhsa_kernel
	.text
.Lfunc_end0:
	.size	fft_rtc_fwd_len847_factors_11_7_11_wgs_231_tpt_77_halfLds_dp_op_CI_CI_unitstride_sbrr_dirReg, .Lfunc_end0-fft_rtc_fwd_len847_factors_11_7_11_wgs_231_tpt_77_halfLds_dp_op_CI_CI_unitstride_sbrr_dirReg
                                        ; -- End function
	.section	.AMDGPU.csdata,"",@progbits
; Kernel info:
; codeLenInByte = 9144
; NumSgprs: 41
; NumVgprs: 204
; ScratchSize: 0
; MemoryBound: 1
; FloatMode: 240
; IeeeMode: 1
; LDSByteSize: 0 bytes/workgroup (compile time only)
; SGPRBlocks: 5
; VGPRBlocks: 25
; NumSGPRsForWavesPerEU: 41
; NumVGPRsForWavesPerEU: 204
; Occupancy: 7
; WaveLimiterHint : 1
; COMPUTE_PGM_RSRC2:SCRATCH_EN: 0
; COMPUTE_PGM_RSRC2:USER_SGPR: 2
; COMPUTE_PGM_RSRC2:TRAP_HANDLER: 0
; COMPUTE_PGM_RSRC2:TGID_X_EN: 1
; COMPUTE_PGM_RSRC2:TGID_Y_EN: 0
; COMPUTE_PGM_RSRC2:TGID_Z_EN: 0
; COMPUTE_PGM_RSRC2:TIDIG_COMP_CNT: 0
	.text
	.p2alignl 7, 3214868480
	.fill 96, 4, 3214868480
	.type	__hip_cuid_db8b34cbd82b844a,@object ; @__hip_cuid_db8b34cbd82b844a
	.section	.bss,"aw",@nobits
	.globl	__hip_cuid_db8b34cbd82b844a
__hip_cuid_db8b34cbd82b844a:
	.byte	0                               ; 0x0
	.size	__hip_cuid_db8b34cbd82b844a, 1

	.ident	"AMD clang version 19.0.0git (https://github.com/RadeonOpenCompute/llvm-project roc-6.4.0 25133 c7fe45cf4b819c5991fe208aaa96edf142730f1d)"
	.section	".note.GNU-stack","",@progbits
	.addrsig
	.addrsig_sym __hip_cuid_db8b34cbd82b844a
	.amdgpu_metadata
---
amdhsa.kernels:
  - .args:
      - .actual_access:  read_only
        .address_space:  global
        .offset:         0
        .size:           8
        .value_kind:     global_buffer
      - .offset:         8
        .size:           8
        .value_kind:     by_value
      - .actual_access:  read_only
        .address_space:  global
        .offset:         16
        .size:           8
        .value_kind:     global_buffer
      - .actual_access:  read_only
        .address_space:  global
        .offset:         24
        .size:           8
        .value_kind:     global_buffer
      - .actual_access:  read_only
        .address_space:  global
        .offset:         32
        .size:           8
        .value_kind:     global_buffer
      - .offset:         40
        .size:           8
        .value_kind:     by_value
      - .actual_access:  read_only
        .address_space:  global
        .offset:         48
        .size:           8
        .value_kind:     global_buffer
      - .actual_access:  read_only
        .address_space:  global
        .offset:         56
        .size:           8
        .value_kind:     global_buffer
      - .offset:         64
        .size:           4
        .value_kind:     by_value
      - .actual_access:  read_only
        .address_space:  global
        .offset:         72
        .size:           8
        .value_kind:     global_buffer
      - .actual_access:  read_only
        .address_space:  global
        .offset:         80
        .size:           8
        .value_kind:     global_buffer
      - .actual_access:  read_only
        .address_space:  global
        .offset:         88
        .size:           8
        .value_kind:     global_buffer
      - .actual_access:  write_only
        .address_space:  global
        .offset:         96
        .size:           8
        .value_kind:     global_buffer
    .group_segment_fixed_size: 0
    .kernarg_segment_align: 8
    .kernarg_segment_size: 104
    .language:       OpenCL C
    .language_version:
      - 2
      - 0
    .max_flat_workgroup_size: 231
    .name:           fft_rtc_fwd_len847_factors_11_7_11_wgs_231_tpt_77_halfLds_dp_op_CI_CI_unitstride_sbrr_dirReg
    .private_segment_fixed_size: 0
    .sgpr_count:     41
    .sgpr_spill_count: 0
    .symbol:         fft_rtc_fwd_len847_factors_11_7_11_wgs_231_tpt_77_halfLds_dp_op_CI_CI_unitstride_sbrr_dirReg.kd
    .uniform_work_group_size: 1
    .uses_dynamic_stack: false
    .vgpr_count:     204
    .vgpr_spill_count: 0
    .wavefront_size: 32
    .workgroup_processor_mode: 1
amdhsa.target:   amdgcn-amd-amdhsa--gfx1201
amdhsa.version:
  - 1
  - 2
...

	.end_amdgpu_metadata
